;; amdgpu-corpus repo=zjin-lcf/HeCBench kind=compiled arch=gfx906 opt=O3
	.amdgcn_target "amdgcn-amd-amdhsa--gfx906"
	.amdhsa_code_object_version 6
	.text
	.protected	_Z27base_elementwise_add_kernelPK6__halfS1_PS_m ; -- Begin function _Z27base_elementwise_add_kernelPK6__halfS1_PS_m
	.globl	_Z27base_elementwise_add_kernelPK6__halfS1_PS_m
	.p2align	8
	.type	_Z27base_elementwise_add_kernelPK6__halfS1_PS_m,@function
_Z27base_elementwise_add_kernelPK6__halfS1_PS_m: ; @_Z27base_elementwise_add_kernelPK6__halfS1_PS_m
; %bb.0:
	s_load_dword s2, s[4:5], 0x2c
	s_load_dwordx2 s[0:1], s[4:5], 0x18
	v_mov_b32_e32 v1, 0
	v_mov_b32_e32 v2, s6
	s_waitcnt lgkmcnt(0)
	s_and_b32 s2, s2, 0xffff
	v_mad_u64_u32 v[0:1], s[2:3], s2, v2, v[0:1]
	v_cmp_gt_u64_e32 vcc, s[0:1], v[0:1]
	s_and_saveexec_b64 s[0:1], vcc
	s_cbranch_execz .LBB0_2
; %bb.1:
	s_load_dwordx4 s[0:3], s[4:5], 0x0
	s_load_dwordx2 s[6:7], s[4:5], 0x10
	v_lshlrev_b64 v[0:1], 1, v[0:1]
	s_waitcnt lgkmcnt(0)
	v_mov_b32_e32 v3, s1
	v_add_co_u32_e32 v2, vcc, s0, v0
	v_addc_co_u32_e32 v3, vcc, v3, v1, vcc
	v_mov_b32_e32 v5, s3
	v_add_co_u32_e32 v4, vcc, s2, v0
	v_addc_co_u32_e32 v5, vcc, v5, v1, vcc
	global_load_ushort v6, v[2:3], off
	global_load_ushort v7, v[4:5], off
	v_mov_b32_e32 v2, s7
	v_add_co_u32_e32 v0, vcc, s6, v0
	v_addc_co_u32_e32 v1, vcc, v2, v1, vcc
	s_waitcnt vmcnt(0)
	v_add_f16_e32 v3, v6, v7
	global_store_short v[0:1], v3, off
.LBB0_2:
	s_endpgm
	.section	.rodata,"a",@progbits
	.p2align	6, 0x0
	.amdhsa_kernel _Z27base_elementwise_add_kernelPK6__halfS1_PS_m
		.amdhsa_group_segment_fixed_size 0
		.amdhsa_private_segment_fixed_size 0
		.amdhsa_kernarg_size 288
		.amdhsa_user_sgpr_count 6
		.amdhsa_user_sgpr_private_segment_buffer 1
		.amdhsa_user_sgpr_dispatch_ptr 0
		.amdhsa_user_sgpr_queue_ptr 0
		.amdhsa_user_sgpr_kernarg_segment_ptr 1
		.amdhsa_user_sgpr_dispatch_id 0
		.amdhsa_user_sgpr_flat_scratch_init 0
		.amdhsa_user_sgpr_private_segment_size 0
		.amdhsa_uses_dynamic_stack 0
		.amdhsa_system_sgpr_private_segment_wavefront_offset 0
		.amdhsa_system_sgpr_workgroup_id_x 1
		.amdhsa_system_sgpr_workgroup_id_y 0
		.amdhsa_system_sgpr_workgroup_id_z 0
		.amdhsa_system_sgpr_workgroup_info 0
		.amdhsa_system_vgpr_workitem_id 0
		.amdhsa_next_free_vgpr 8
		.amdhsa_next_free_sgpr 8
		.amdhsa_reserve_vcc 1
		.amdhsa_reserve_flat_scratch 0
		.amdhsa_float_round_mode_32 0
		.amdhsa_float_round_mode_16_64 0
		.amdhsa_float_denorm_mode_32 3
		.amdhsa_float_denorm_mode_16_64 3
		.amdhsa_dx10_clamp 1
		.amdhsa_ieee_mode 1
		.amdhsa_fp16_overflow 0
		.amdhsa_exception_fp_ieee_invalid_op 0
		.amdhsa_exception_fp_denorm_src 0
		.amdhsa_exception_fp_ieee_div_zero 0
		.amdhsa_exception_fp_ieee_overflow 0
		.amdhsa_exception_fp_ieee_underflow 0
		.amdhsa_exception_fp_ieee_inexact 0
		.amdhsa_exception_int_div_zero 0
	.end_amdhsa_kernel
	.text
.Lfunc_end0:
	.size	_Z27base_elementwise_add_kernelPK6__halfS1_PS_m, .Lfunc_end0-_Z27base_elementwise_add_kernelPK6__halfS1_PS_m
                                        ; -- End function
	.set _Z27base_elementwise_add_kernelPK6__halfS1_PS_m.num_vgpr, 8
	.set _Z27base_elementwise_add_kernelPK6__halfS1_PS_m.num_agpr, 0
	.set _Z27base_elementwise_add_kernelPK6__halfS1_PS_m.numbered_sgpr, 8
	.set _Z27base_elementwise_add_kernelPK6__halfS1_PS_m.num_named_barrier, 0
	.set _Z27base_elementwise_add_kernelPK6__halfS1_PS_m.private_seg_size, 0
	.set _Z27base_elementwise_add_kernelPK6__halfS1_PS_m.uses_vcc, 1
	.set _Z27base_elementwise_add_kernelPK6__halfS1_PS_m.uses_flat_scratch, 0
	.set _Z27base_elementwise_add_kernelPK6__halfS1_PS_m.has_dyn_sized_stack, 0
	.set _Z27base_elementwise_add_kernelPK6__halfS1_PS_m.has_recursion, 0
	.set _Z27base_elementwise_add_kernelPK6__halfS1_PS_m.has_indirect_call, 0
	.section	.AMDGPU.csdata,"",@progbits
; Kernel info:
; codeLenInByte = 156
; TotalNumSgprs: 12
; NumVgprs: 8
; ScratchSize: 0
; MemoryBound: 0
; FloatMode: 240
; IeeeMode: 1
; LDSByteSize: 0 bytes/workgroup (compile time only)
; SGPRBlocks: 1
; VGPRBlocks: 1
; NumSGPRsForWavesPerEU: 12
; NumVGPRsForWavesPerEU: 8
; Occupancy: 10
; WaveLimiterHint : 0
; COMPUTE_PGM_RSRC2:SCRATCH_EN: 0
; COMPUTE_PGM_RSRC2:USER_SGPR: 6
; COMPUTE_PGM_RSRC2:TRAP_HANDLER: 0
; COMPUTE_PGM_RSRC2:TGID_X_EN: 1
; COMPUTE_PGM_RSRC2:TGID_Y_EN: 0
; COMPUTE_PGM_RSRC2:TGID_Z_EN: 0
; COMPUTE_PGM_RSRC2:TIDIG_COMP_CNT: 0
	.text
	.protected	_Z33vectorized_elementwise_add_kernelPK6__halfS1_PS_m ; -- Begin function _Z33vectorized_elementwise_add_kernelPK6__halfS1_PS_m
	.globl	_Z33vectorized_elementwise_add_kernelPK6__halfS1_PS_m
	.p2align	8
	.type	_Z33vectorized_elementwise_add_kernelPK6__halfS1_PS_m,@function
_Z33vectorized_elementwise_add_kernelPK6__halfS1_PS_m: ; @_Z33vectorized_elementwise_add_kernelPK6__halfS1_PS_m
; %bb.0:
	s_load_dword s0, s[4:5], 0x2c
	s_load_dwordx8 s[8:15], s[4:5], 0x0
	v_lshlrev_b32_e32 v1, 3, v0
	v_mov_b32_e32 v2, 0
	s_waitcnt lgkmcnt(0)
	s_and_b32 s4, s0, 0xffff
	s_lshl_b32 s0, s6, 3
	v_mov_b32_e32 v3, s4
	v_mad_u64_u32 v[1:2], s[0:1], s0, v3, v[1:2]
	s_lshr_b32 s0, s6, 29
	s_mul_i32 s0, s0, s4
	v_add_u32_e32 v2, s0, v2
	v_mov_b32_e32 v4, s15
	v_sub_co_u32_e32 v3, vcc, s14, v1
	v_subb_co_u32_e32 v4, vcc, v4, v2, vcc
	v_cmp_lt_u64_e32 vcc, 7, v[3:4]
	s_and_saveexec_b64 s[0:1], vcc
	s_xor_b64 s[0:1], exec, s[0:1]
	s_cbranch_execz .LBB1_2
; %bb.1:
	v_lshlrev_b64 v[8:9], 1, v[1:2]
	v_mov_b32_e32 v1, s9
	v_add_co_u32_e32 v0, vcc, s8, v8
	v_addc_co_u32_e32 v1, vcc, v1, v9, vcc
	v_mov_b32_e32 v5, s11
	v_add_co_u32_e32 v4, vcc, s10, v8
	v_addc_co_u32_e32 v5, vcc, v5, v9, vcc
	global_load_dwordx4 v[0:3], v[0:1], off
	v_mov_b32_e32 v10, s13
	global_load_dwordx4 v[4:7], v[4:5], off
	s_waitcnt vmcnt(0)
	v_pk_add_f16 v0, v0, v4
	v_add_co_u32_e32 v4, vcc, s12, v8
	v_pk_add_f16 v1, v1, v5
	v_pk_add_f16 v2, v2, v6
	;; [unrolled: 1-line block ×3, first 2 shown]
	v_addc_co_u32_e32 v5, vcc, v10, v9, vcc
	global_store_dwordx4 v[4:5], v[0:3], off
                                        ; implicit-def: $vgpr1_vgpr2
                                        ; implicit-def: $vgpr3_vgpr4
                                        ; implicit-def: $vgpr0
.LBB1_2:
	s_andn2_saveexec_b64 s[0:1], s[0:1]
	s_cbranch_execz .LBB1_11
; %bb.3:
	v_cmp_gt_u64_e32 vcc, s[14:15], v[1:2]
	s_and_saveexec_b64 s[0:1], vcc
	s_cbranch_execz .LBB1_11
; %bb.4:
	v_cmp_lt_u64_e32 vcc, 1, v[3:4]
	s_mov_b64 s[2:3], -1
	s_and_saveexec_b64 s[0:1], vcc
	s_cbranch_execz .LBB1_8
; %bb.5:
	s_and_b32 s2, s14, 1
	v_subrev_co_u32_e32 v3, vcc, s2, v3
	s_mul_hi_u32 s5, s6, s4
	s_mul_i32 s4, s6, s4
	v_subbrev_co_u32_e32 v4, vcc, 0, v4, vcc
	s_lshl_b64 s[4:5], s[4:5], 4
	v_lshlrev_b32_e32 v0, 4, v0
	v_mov_b32_e32 v5, s5
	v_add_co_u32_e32 v0, vcc, s4, v0
	v_addc_co_u32_e32 v10, vcc, 0, v5, vcc
	v_mov_b32_e32 v6, s13
	v_add_co_u32_e32 v5, vcc, s12, v0
	v_addc_co_u32_e32 v6, vcc, v6, v10, vcc
	;; [unrolled: 3-line block ×4, first 2 shown]
	v_mov_b32_e32 v12, v4
	s_mov_b32 s3, 0
	s_mov_b64 s[4:5], 0
	v_mov_b32_e32 v11, v3
.LBB1_6:                                ; =>This Inner Loop Header: Depth=1
	global_load_dword v0, v[9:10], off
	global_load_dword v13, v[7:8], off
	v_add_co_u32_e32 v11, vcc, -2, v11
	v_addc_co_u32_e32 v12, vcc, -1, v12, vcc
	v_add_co_u32_e32 v7, vcc, 4, v7
	v_addc_co_u32_e32 v8, vcc, 0, v8, vcc
	v_add_co_u32_e32 v9, vcc, 4, v9
	v_addc_co_u32_e32 v10, vcc, 0, v10, vcc
	v_cmp_eq_u64_e32 vcc, 0, v[11:12]
	s_or_b64 s[4:5], vcc, s[4:5]
	s_waitcnt vmcnt(0)
	v_pk_add_f16 v0, v0, v13
	global_store_dword v[5:6], v0, off
	v_add_co_u32_e32 v5, vcc, 4, v5
	v_addc_co_u32_e32 v6, vcc, 0, v6, vcc
	s_andn2_b64 exec, exec, s[4:5]
	s_cbranch_execnz .LBB1_6
; %bb.7:
	s_or_b64 exec, exec, s[4:5]
	s_cmp_lg_u64 s[2:3], 0
	s_cselect_b64 s[2:3], -1, 0
	v_or_b32_e32 v2, v2, v4
	v_or_b32_e32 v1, v1, v3
	s_orn2_b64 s[2:3], s[2:3], exec
.LBB1_8:
	s_or_b64 exec, exec, s[0:1]
	s_and_b64 exec, exec, s[2:3]
	s_cbranch_execz .LBB1_11
; %bb.9:
	v_lshlrev_b64 v[7:8], 1, v[1:2]
	v_mov_b32_e32 v0, s13
	v_add_co_u32_e32 v3, vcc, s12, v7
	v_addc_co_u32_e32 v4, vcc, v0, v8, vcc
	v_mov_b32_e32 v0, s11
	v_add_co_u32_e32 v5, vcc, s10, v7
	v_addc_co_u32_e32 v6, vcc, v0, v8, vcc
	;; [unrolled: 3-line block ×3, first 2 shown]
	s_mov_b64 s[0:1], 0
.LBB1_10:                               ; =>This Inner Loop Header: Depth=1
	global_load_ushort v0, v[7:8], off
	global_load_ushort v9, v[5:6], off
	v_add_co_u32_e32 v1, vcc, 1, v1
	v_addc_co_u32_e32 v2, vcc, 0, v2, vcc
	v_add_co_u32_e32 v5, vcc, 2, v5
	v_addc_co_u32_e32 v6, vcc, 0, v6, vcc
	;; [unrolled: 2-line block ×3, first 2 shown]
	v_cmp_le_u64_e32 vcc, s[14:15], v[1:2]
	s_or_b64 s[0:1], vcc, s[0:1]
	s_waitcnt vmcnt(0)
	v_add_f16_e32 v0, v0, v9
	global_store_short v[3:4], v0, off
	v_add_co_u32_e32 v3, vcc, 2, v3
	v_addc_co_u32_e32 v4, vcc, 0, v4, vcc
	s_andn2_b64 exec, exec, s[0:1]
	s_cbranch_execnz .LBB1_10
.LBB1_11:
	s_endpgm
	.section	.rodata,"a",@progbits
	.p2align	6, 0x0
	.amdhsa_kernel _Z33vectorized_elementwise_add_kernelPK6__halfS1_PS_m
		.amdhsa_group_segment_fixed_size 0
		.amdhsa_private_segment_fixed_size 0
		.amdhsa_kernarg_size 288
		.amdhsa_user_sgpr_count 6
		.amdhsa_user_sgpr_private_segment_buffer 1
		.amdhsa_user_sgpr_dispatch_ptr 0
		.amdhsa_user_sgpr_queue_ptr 0
		.amdhsa_user_sgpr_kernarg_segment_ptr 1
		.amdhsa_user_sgpr_dispatch_id 0
		.amdhsa_user_sgpr_flat_scratch_init 0
		.amdhsa_user_sgpr_private_segment_size 0
		.amdhsa_uses_dynamic_stack 0
		.amdhsa_system_sgpr_private_segment_wavefront_offset 0
		.amdhsa_system_sgpr_workgroup_id_x 1
		.amdhsa_system_sgpr_workgroup_id_y 0
		.amdhsa_system_sgpr_workgroup_id_z 0
		.amdhsa_system_sgpr_workgroup_info 0
		.amdhsa_system_vgpr_workitem_id 0
		.amdhsa_next_free_vgpr 14
		.amdhsa_next_free_sgpr 16
		.amdhsa_reserve_vcc 1
		.amdhsa_reserve_flat_scratch 0
		.amdhsa_float_round_mode_32 0
		.amdhsa_float_round_mode_16_64 0
		.amdhsa_float_denorm_mode_32 3
		.amdhsa_float_denorm_mode_16_64 3
		.amdhsa_dx10_clamp 1
		.amdhsa_ieee_mode 1
		.amdhsa_fp16_overflow 0
		.amdhsa_exception_fp_ieee_invalid_op 0
		.amdhsa_exception_fp_denorm_src 0
		.amdhsa_exception_fp_ieee_div_zero 0
		.amdhsa_exception_fp_ieee_overflow 0
		.amdhsa_exception_fp_ieee_underflow 0
		.amdhsa_exception_fp_ieee_inexact 0
		.amdhsa_exception_int_div_zero 0
	.end_amdhsa_kernel
	.text
.Lfunc_end1:
	.size	_Z33vectorized_elementwise_add_kernelPK6__halfS1_PS_m, .Lfunc_end1-_Z33vectorized_elementwise_add_kernelPK6__halfS1_PS_m
                                        ; -- End function
	.set _Z33vectorized_elementwise_add_kernelPK6__halfS1_PS_m.num_vgpr, 14
	.set _Z33vectorized_elementwise_add_kernelPK6__halfS1_PS_m.num_agpr, 0
	.set _Z33vectorized_elementwise_add_kernelPK6__halfS1_PS_m.numbered_sgpr, 16
	.set _Z33vectorized_elementwise_add_kernelPK6__halfS1_PS_m.num_named_barrier, 0
	.set _Z33vectorized_elementwise_add_kernelPK6__halfS1_PS_m.private_seg_size, 0
	.set _Z33vectorized_elementwise_add_kernelPK6__halfS1_PS_m.uses_vcc, 1
	.set _Z33vectorized_elementwise_add_kernelPK6__halfS1_PS_m.uses_flat_scratch, 0
	.set _Z33vectorized_elementwise_add_kernelPK6__halfS1_PS_m.has_dyn_sized_stack, 0
	.set _Z33vectorized_elementwise_add_kernelPK6__halfS1_PS_m.has_recursion, 0
	.set _Z33vectorized_elementwise_add_kernelPK6__halfS1_PS_m.has_indirect_call, 0
	.section	.AMDGPU.csdata,"",@progbits
; Kernel info:
; codeLenInByte = 576
; TotalNumSgprs: 20
; NumVgprs: 14
; ScratchSize: 0
; MemoryBound: 0
; FloatMode: 240
; IeeeMode: 1
; LDSByteSize: 0 bytes/workgroup (compile time only)
; SGPRBlocks: 2
; VGPRBlocks: 3
; NumSGPRsForWavesPerEU: 20
; NumVGPRsForWavesPerEU: 14
; Occupancy: 10
; WaveLimiterHint : 0
; COMPUTE_PGM_RSRC2:SCRATCH_EN: 0
; COMPUTE_PGM_RSRC2:USER_SGPR: 6
; COMPUTE_PGM_RSRC2:TRAP_HANDLER: 0
; COMPUTE_PGM_RSRC2:TGID_X_EN: 1
; COMPUTE_PGM_RSRC2:TGID_Y_EN: 0
; COMPUTE_PGM_RSRC2:TGID_Z_EN: 0
; COMPUTE_PGM_RSRC2:TIDIG_COMP_CNT: 0
	.section	.text._Z25tv_elementwise_add_kernelILi512EEvPK6__halfS2_PS0_ii,"axG",@progbits,_Z25tv_elementwise_add_kernelILi512EEvPK6__halfS2_PS0_ii,comdat
	.protected	_Z25tv_elementwise_add_kernelILi512EEvPK6__halfS2_PS0_ii ; -- Begin function _Z25tv_elementwise_add_kernelILi512EEvPK6__halfS2_PS0_ii
	.globl	_Z25tv_elementwise_add_kernelILi512EEvPK6__halfS2_PS0_ii
	.p2align	8
	.type	_Z25tv_elementwise_add_kernelILi512EEvPK6__halfS2_PS0_ii,@function
_Z25tv_elementwise_add_kernelILi512EEvPK6__halfS2_PS0_ii: ; @_Z25tv_elementwise_add_kernelILi512EEvPK6__halfS2_PS0_ii
; %bb.0:
	s_load_dwordx4 s[0:3], s[4:5], 0x0
	s_load_dwordx2 s[8:9], s[4:5], 0x10
	s_load_dword s10, s[4:5], 0x1c
	v_lshrrev_b32_e32 v1, 4, v0
	v_lshlrev_b32_e32 v0, 3, v0
	v_and_b32_e32 v0, 0x1f8, v0
	v_and_b32_e32 v1, 60, v1
	v_lshl_or_b32 v8, s6, 9, v0
	v_lshl_add_u32 v12, s7, 4, v1
	v_ashrrev_i32_e32 v9, 31, v8
	s_waitcnt lgkmcnt(0)
	v_mad_i64_i32 v[0:1], s[4:5], v12, s10, v[8:9]
	v_mov_b32_e32 v13, s1
	v_mov_b32_e32 v14, s3
	v_lshlrev_b64 v[10:11], 1, v[0:1]
	v_mov_b32_e32 v15, s9
	v_add_co_u32_e32 v0, vcc, s0, v10
	v_addc_co_u32_e32 v1, vcc, v13, v11, vcc
	v_add_co_u32_e32 v4, vcc, s2, v10
	v_addc_co_u32_e32 v5, vcc, v14, v11, vcc
	global_load_dwordx4 v[0:3], v[0:1], off
	s_nop 0
	global_load_dwordx4 v[4:7], v[4:5], off
	s_waitcnt vmcnt(0)
	v_pk_add_f16 v0, v0, v4
	v_add_co_u32_e32 v4, vcc, s8, v10
	v_pk_add_f16 v1, v1, v5
	v_pk_add_f16 v2, v2, v6
	v_pk_add_f16 v3, v3, v7
	v_addc_co_u32_e32 v5, vcc, v15, v11, vcc
	global_store_dwordx4 v[4:5], v[0:3], off
	s_nop 0
	v_or_b32_e32 v0, 1, v12
	v_mad_i64_i32 v[0:1], s[4:5], v0, s10, v[8:9]
	v_lshlrev_b64 v[10:11], 1, v[0:1]
	v_add_co_u32_e32 v0, vcc, s0, v10
	v_addc_co_u32_e32 v1, vcc, v13, v11, vcc
	v_add_co_u32_e32 v4, vcc, s2, v10
	v_addc_co_u32_e32 v5, vcc, v14, v11, vcc
	global_load_dwordx4 v[0:3], v[0:1], off
	s_nop 0
	global_load_dwordx4 v[4:7], v[4:5], off
	s_waitcnt vmcnt(0)
	v_pk_add_f16 v0, v0, v4
	v_add_co_u32_e32 v4, vcc, s8, v10
	v_pk_add_f16 v1, v1, v5
	v_pk_add_f16 v2, v2, v6
	v_pk_add_f16 v3, v3, v7
	v_addc_co_u32_e32 v5, vcc, v15, v11, vcc
	global_store_dwordx4 v[4:5], v[0:3], off
	s_nop 0
	v_or_b32_e32 v0, 2, v12
	v_mad_i64_i32 v[0:1], s[4:5], v0, s10, v[8:9]
	v_lshlrev_b64 v[10:11], 1, v[0:1]
	;; [unrolled: 19-line block ×3, first 2 shown]
	v_add_co_u32_e32 v0, vcc, s0, v8
	v_addc_co_u32_e32 v1, vcc, v13, v9, vcc
	v_add_co_u32_e32 v4, vcc, s2, v8
	v_addc_co_u32_e32 v5, vcc, v14, v9, vcc
	global_load_dwordx4 v[0:3], v[0:1], off
	s_nop 0
	global_load_dwordx4 v[4:7], v[4:5], off
	s_waitcnt vmcnt(0)
	v_pk_add_f16 v0, v0, v4
	v_add_co_u32_e32 v4, vcc, s8, v8
	v_pk_add_f16 v1, v1, v5
	v_pk_add_f16 v2, v2, v6
	;; [unrolled: 1-line block ×3, first 2 shown]
	v_addc_co_u32_e32 v5, vcc, v15, v9, vcc
	global_store_dwordx4 v[4:5], v[0:3], off
	s_endpgm
	.section	.rodata,"a",@progbits
	.p2align	6, 0x0
	.amdhsa_kernel _Z25tv_elementwise_add_kernelILi512EEvPK6__halfS2_PS0_ii
		.amdhsa_group_segment_fixed_size 0
		.amdhsa_private_segment_fixed_size 0
		.amdhsa_kernarg_size 32
		.amdhsa_user_sgpr_count 6
		.amdhsa_user_sgpr_private_segment_buffer 1
		.amdhsa_user_sgpr_dispatch_ptr 0
		.amdhsa_user_sgpr_queue_ptr 0
		.amdhsa_user_sgpr_kernarg_segment_ptr 1
		.amdhsa_user_sgpr_dispatch_id 0
		.amdhsa_user_sgpr_flat_scratch_init 0
		.amdhsa_user_sgpr_private_segment_size 0
		.amdhsa_uses_dynamic_stack 0
		.amdhsa_system_sgpr_private_segment_wavefront_offset 0
		.amdhsa_system_sgpr_workgroup_id_x 1
		.amdhsa_system_sgpr_workgroup_id_y 1
		.amdhsa_system_sgpr_workgroup_id_z 0
		.amdhsa_system_sgpr_workgroup_info 0
		.amdhsa_system_vgpr_workitem_id 0
		.amdhsa_next_free_vgpr 16
		.amdhsa_next_free_sgpr 11
		.amdhsa_reserve_vcc 1
		.amdhsa_reserve_flat_scratch 0
		.amdhsa_float_round_mode_32 0
		.amdhsa_float_round_mode_16_64 0
		.amdhsa_float_denorm_mode_32 3
		.amdhsa_float_denorm_mode_16_64 3
		.amdhsa_dx10_clamp 1
		.amdhsa_ieee_mode 1
		.amdhsa_fp16_overflow 0
		.amdhsa_exception_fp_ieee_invalid_op 0
		.amdhsa_exception_fp_denorm_src 0
		.amdhsa_exception_fp_ieee_div_zero 0
		.amdhsa_exception_fp_ieee_overflow 0
		.amdhsa_exception_fp_ieee_underflow 0
		.amdhsa_exception_fp_ieee_inexact 0
		.amdhsa_exception_int_div_zero 0
	.end_amdhsa_kernel
	.section	.text._Z25tv_elementwise_add_kernelILi512EEvPK6__halfS2_PS0_ii,"axG",@progbits,_Z25tv_elementwise_add_kernelILi512EEvPK6__halfS2_PS0_ii,comdat
.Lfunc_end2:
	.size	_Z25tv_elementwise_add_kernelILi512EEvPK6__halfS2_PS0_ii, .Lfunc_end2-_Z25tv_elementwise_add_kernelILi512EEvPK6__halfS2_PS0_ii
                                        ; -- End function
	.set _Z25tv_elementwise_add_kernelILi512EEvPK6__halfS2_PS0_ii.num_vgpr, 16
	.set _Z25tv_elementwise_add_kernelILi512EEvPK6__halfS2_PS0_ii.num_agpr, 0
	.set _Z25tv_elementwise_add_kernelILi512EEvPK6__halfS2_PS0_ii.numbered_sgpr, 11
	.set _Z25tv_elementwise_add_kernelILi512EEvPK6__halfS2_PS0_ii.num_named_barrier, 0
	.set _Z25tv_elementwise_add_kernelILi512EEvPK6__halfS2_PS0_ii.private_seg_size, 0
	.set _Z25tv_elementwise_add_kernelILi512EEvPK6__halfS2_PS0_ii.uses_vcc, 1
	.set _Z25tv_elementwise_add_kernelILi512EEvPK6__halfS2_PS0_ii.uses_flat_scratch, 0
	.set _Z25tv_elementwise_add_kernelILi512EEvPK6__halfS2_PS0_ii.has_dyn_sized_stack, 0
	.set _Z25tv_elementwise_add_kernelILi512EEvPK6__halfS2_PS0_ii.has_recursion, 0
	.set _Z25tv_elementwise_add_kernelILi512EEvPK6__halfS2_PS0_ii.has_indirect_call, 0
	.section	.AMDGPU.csdata,"",@progbits
; Kernel info:
; codeLenInByte = 524
; TotalNumSgprs: 15
; NumVgprs: 16
; ScratchSize: 0
; MemoryBound: 0
; FloatMode: 240
; IeeeMode: 1
; LDSByteSize: 0 bytes/workgroup (compile time only)
; SGPRBlocks: 1
; VGPRBlocks: 3
; NumSGPRsForWavesPerEU: 15
; NumVGPRsForWavesPerEU: 16
; Occupancy: 10
; WaveLimiterHint : 0
; COMPUTE_PGM_RSRC2:SCRATCH_EN: 0
; COMPUTE_PGM_RSRC2:USER_SGPR: 6
; COMPUTE_PGM_RSRC2:TRAP_HANDLER: 0
; COMPUTE_PGM_RSRC2:TGID_X_EN: 1
; COMPUTE_PGM_RSRC2:TGID_Y_EN: 1
; COMPUTE_PGM_RSRC2:TGID_Z_EN: 0
; COMPUTE_PGM_RSRC2:TIDIG_COMP_CNT: 0
	.section	.text._Z25tv_elementwise_add_kernelILi256EEvPK6__halfS2_PS0_ii,"axG",@progbits,_Z25tv_elementwise_add_kernelILi256EEvPK6__halfS2_PS0_ii,comdat
	.protected	_Z25tv_elementwise_add_kernelILi256EEvPK6__halfS2_PS0_ii ; -- Begin function _Z25tv_elementwise_add_kernelILi256EEvPK6__halfS2_PS0_ii
	.globl	_Z25tv_elementwise_add_kernelILi256EEvPK6__halfS2_PS0_ii
	.p2align	8
	.type	_Z25tv_elementwise_add_kernelILi256EEvPK6__halfS2_PS0_ii,@function
_Z25tv_elementwise_add_kernelILi256EEvPK6__halfS2_PS0_ii: ; @_Z25tv_elementwise_add_kernelILi256EEvPK6__halfS2_PS0_ii
; %bb.0:
	s_load_dwordx4 s[0:3], s[4:5], 0x0
	s_load_dwordx2 s[8:9], s[4:5], 0x10
	s_load_dword s10, s[4:5], 0x1c
	v_lshrrev_b32_e32 v1, 4, v0
	v_lshlrev_b32_e32 v0, 3, v0
	v_and_b32_e32 v0, 0x1f8, v0
	v_and_b32_e32 v1, 60, v1
	v_lshl_add_u32 v8, s6, 8, v0
	v_lshl_add_u32 v12, s7, 4, v1
	v_ashrrev_i32_e32 v9, 31, v8
	s_waitcnt lgkmcnt(0)
	v_mad_i64_i32 v[0:1], s[4:5], v12, s10, v[8:9]
	v_mov_b32_e32 v13, s1
	v_mov_b32_e32 v14, s3
	v_lshlrev_b64 v[10:11], 1, v[0:1]
	v_mov_b32_e32 v15, s9
	v_add_co_u32_e32 v0, vcc, s0, v10
	v_addc_co_u32_e32 v1, vcc, v13, v11, vcc
	v_add_co_u32_e32 v4, vcc, s2, v10
	v_addc_co_u32_e32 v5, vcc, v14, v11, vcc
	global_load_dwordx4 v[0:3], v[0:1], off
	s_nop 0
	global_load_dwordx4 v[4:7], v[4:5], off
	s_waitcnt vmcnt(0)
	v_pk_add_f16 v0, v0, v4
	v_add_co_u32_e32 v4, vcc, s8, v10
	v_pk_add_f16 v1, v1, v5
	v_pk_add_f16 v2, v2, v6
	v_pk_add_f16 v3, v3, v7
	v_addc_co_u32_e32 v5, vcc, v15, v11, vcc
	global_store_dwordx4 v[4:5], v[0:3], off
	s_nop 0
	v_or_b32_e32 v0, 1, v12
	v_mad_i64_i32 v[0:1], s[4:5], v0, s10, v[8:9]
	v_lshlrev_b64 v[10:11], 1, v[0:1]
	v_add_co_u32_e32 v0, vcc, s0, v10
	v_addc_co_u32_e32 v1, vcc, v13, v11, vcc
	v_add_co_u32_e32 v4, vcc, s2, v10
	v_addc_co_u32_e32 v5, vcc, v14, v11, vcc
	global_load_dwordx4 v[0:3], v[0:1], off
	s_nop 0
	global_load_dwordx4 v[4:7], v[4:5], off
	s_waitcnt vmcnt(0)
	v_pk_add_f16 v0, v0, v4
	v_add_co_u32_e32 v4, vcc, s8, v10
	v_pk_add_f16 v1, v1, v5
	v_pk_add_f16 v2, v2, v6
	v_pk_add_f16 v3, v3, v7
	v_addc_co_u32_e32 v5, vcc, v15, v11, vcc
	global_store_dwordx4 v[4:5], v[0:3], off
	s_nop 0
	v_or_b32_e32 v0, 2, v12
	v_mad_i64_i32 v[0:1], s[4:5], v0, s10, v[8:9]
	v_lshlrev_b64 v[10:11], 1, v[0:1]
	;; [unrolled: 19-line block ×3, first 2 shown]
	v_add_co_u32_e32 v0, vcc, s0, v8
	v_addc_co_u32_e32 v1, vcc, v13, v9, vcc
	v_add_co_u32_e32 v4, vcc, s2, v8
	v_addc_co_u32_e32 v5, vcc, v14, v9, vcc
	global_load_dwordx4 v[0:3], v[0:1], off
	s_nop 0
	global_load_dwordx4 v[4:7], v[4:5], off
	s_waitcnt vmcnt(0)
	v_pk_add_f16 v0, v0, v4
	v_add_co_u32_e32 v4, vcc, s8, v8
	v_pk_add_f16 v1, v1, v5
	v_pk_add_f16 v2, v2, v6
	;; [unrolled: 1-line block ×3, first 2 shown]
	v_addc_co_u32_e32 v5, vcc, v15, v9, vcc
	global_store_dwordx4 v[4:5], v[0:3], off
	s_endpgm
	.section	.rodata,"a",@progbits
	.p2align	6, 0x0
	.amdhsa_kernel _Z25tv_elementwise_add_kernelILi256EEvPK6__halfS2_PS0_ii
		.amdhsa_group_segment_fixed_size 0
		.amdhsa_private_segment_fixed_size 0
		.amdhsa_kernarg_size 32
		.amdhsa_user_sgpr_count 6
		.amdhsa_user_sgpr_private_segment_buffer 1
		.amdhsa_user_sgpr_dispatch_ptr 0
		.amdhsa_user_sgpr_queue_ptr 0
		.amdhsa_user_sgpr_kernarg_segment_ptr 1
		.amdhsa_user_sgpr_dispatch_id 0
		.amdhsa_user_sgpr_flat_scratch_init 0
		.amdhsa_user_sgpr_private_segment_size 0
		.amdhsa_uses_dynamic_stack 0
		.amdhsa_system_sgpr_private_segment_wavefront_offset 0
		.amdhsa_system_sgpr_workgroup_id_x 1
		.amdhsa_system_sgpr_workgroup_id_y 1
		.amdhsa_system_sgpr_workgroup_id_z 0
		.amdhsa_system_sgpr_workgroup_info 0
		.amdhsa_system_vgpr_workitem_id 0
		.amdhsa_next_free_vgpr 16
		.amdhsa_next_free_sgpr 11
		.amdhsa_reserve_vcc 1
		.amdhsa_reserve_flat_scratch 0
		.amdhsa_float_round_mode_32 0
		.amdhsa_float_round_mode_16_64 0
		.amdhsa_float_denorm_mode_32 3
		.amdhsa_float_denorm_mode_16_64 3
		.amdhsa_dx10_clamp 1
		.amdhsa_ieee_mode 1
		.amdhsa_fp16_overflow 0
		.amdhsa_exception_fp_ieee_invalid_op 0
		.amdhsa_exception_fp_denorm_src 0
		.amdhsa_exception_fp_ieee_div_zero 0
		.amdhsa_exception_fp_ieee_overflow 0
		.amdhsa_exception_fp_ieee_underflow 0
		.amdhsa_exception_fp_ieee_inexact 0
		.amdhsa_exception_int_div_zero 0
	.end_amdhsa_kernel
	.section	.text._Z25tv_elementwise_add_kernelILi256EEvPK6__halfS2_PS0_ii,"axG",@progbits,_Z25tv_elementwise_add_kernelILi256EEvPK6__halfS2_PS0_ii,comdat
.Lfunc_end3:
	.size	_Z25tv_elementwise_add_kernelILi256EEvPK6__halfS2_PS0_ii, .Lfunc_end3-_Z25tv_elementwise_add_kernelILi256EEvPK6__halfS2_PS0_ii
                                        ; -- End function
	.set _Z25tv_elementwise_add_kernelILi256EEvPK6__halfS2_PS0_ii.num_vgpr, 16
	.set _Z25tv_elementwise_add_kernelILi256EEvPK6__halfS2_PS0_ii.num_agpr, 0
	.set _Z25tv_elementwise_add_kernelILi256EEvPK6__halfS2_PS0_ii.numbered_sgpr, 11
	.set _Z25tv_elementwise_add_kernelILi256EEvPK6__halfS2_PS0_ii.num_named_barrier, 0
	.set _Z25tv_elementwise_add_kernelILi256EEvPK6__halfS2_PS0_ii.private_seg_size, 0
	.set _Z25tv_elementwise_add_kernelILi256EEvPK6__halfS2_PS0_ii.uses_vcc, 1
	.set _Z25tv_elementwise_add_kernelILi256EEvPK6__halfS2_PS0_ii.uses_flat_scratch, 0
	.set _Z25tv_elementwise_add_kernelILi256EEvPK6__halfS2_PS0_ii.has_dyn_sized_stack, 0
	.set _Z25tv_elementwise_add_kernelILi256EEvPK6__halfS2_PS0_ii.has_recursion, 0
	.set _Z25tv_elementwise_add_kernelILi256EEvPK6__halfS2_PS0_ii.has_indirect_call, 0
	.section	.AMDGPU.csdata,"",@progbits
; Kernel info:
; codeLenInByte = 524
; TotalNumSgprs: 15
; NumVgprs: 16
; ScratchSize: 0
; MemoryBound: 0
; FloatMode: 240
; IeeeMode: 1
; LDSByteSize: 0 bytes/workgroup (compile time only)
; SGPRBlocks: 1
; VGPRBlocks: 3
; NumSGPRsForWavesPerEU: 15
; NumVGPRsForWavesPerEU: 16
; Occupancy: 10
; WaveLimiterHint : 0
; COMPUTE_PGM_RSRC2:SCRATCH_EN: 0
; COMPUTE_PGM_RSRC2:USER_SGPR: 6
; COMPUTE_PGM_RSRC2:TRAP_HANDLER: 0
; COMPUTE_PGM_RSRC2:TGID_X_EN: 1
; COMPUTE_PGM_RSRC2:TGID_Y_EN: 1
; COMPUTE_PGM_RSRC2:TGID_Z_EN: 0
; COMPUTE_PGM_RSRC2:TIDIG_COMP_CNT: 0
	.section	.AMDGPU.gpr_maximums,"",@progbits
	.set amdgpu.max_num_vgpr, 0
	.set amdgpu.max_num_agpr, 0
	.set amdgpu.max_num_sgpr, 0
	.section	.AMDGPU.csdata,"",@progbits
	.type	__hip_cuid_1eb20471c6c491ae,@object ; @__hip_cuid_1eb20471c6c491ae
	.section	.bss,"aw",@nobits
	.globl	__hip_cuid_1eb20471c6c491ae
__hip_cuid_1eb20471c6c491ae:
	.byte	0                               ; 0x0
	.size	__hip_cuid_1eb20471c6c491ae, 1

	.ident	"AMD clang version 22.0.0git (https://github.com/RadeonOpenCompute/llvm-project roc-7.2.4 26084 f58b06dce1f9c15707c5f808fd002e18c2accf7e)"
	.section	".note.GNU-stack","",@progbits
	.addrsig
	.addrsig_sym __hip_cuid_1eb20471c6c491ae
	.amdgpu_metadata
---
amdhsa.kernels:
  - .args:
      - .actual_access:  read_only
        .address_space:  global
        .offset:         0
        .size:           8
        .value_kind:     global_buffer
      - .actual_access:  read_only
        .address_space:  global
        .offset:         8
        .size:           8
        .value_kind:     global_buffer
      - .actual_access:  write_only
        .address_space:  global
        .offset:         16
        .size:           8
        .value_kind:     global_buffer
      - .offset:         24
        .size:           8
        .value_kind:     by_value
      - .offset:         32
        .size:           4
        .value_kind:     hidden_block_count_x
      - .offset:         36
        .size:           4
        .value_kind:     hidden_block_count_y
      - .offset:         40
        .size:           4
        .value_kind:     hidden_block_count_z
      - .offset:         44
        .size:           2
        .value_kind:     hidden_group_size_x
      - .offset:         46
        .size:           2
        .value_kind:     hidden_group_size_y
      - .offset:         48
        .size:           2
        .value_kind:     hidden_group_size_z
      - .offset:         50
        .size:           2
        .value_kind:     hidden_remainder_x
      - .offset:         52
        .size:           2
        .value_kind:     hidden_remainder_y
      - .offset:         54
        .size:           2
        .value_kind:     hidden_remainder_z
      - .offset:         72
        .size:           8
        .value_kind:     hidden_global_offset_x
      - .offset:         80
        .size:           8
        .value_kind:     hidden_global_offset_y
      - .offset:         88
        .size:           8
        .value_kind:     hidden_global_offset_z
      - .offset:         96
        .size:           2
        .value_kind:     hidden_grid_dims
    .group_segment_fixed_size: 0
    .kernarg_segment_align: 8
    .kernarg_segment_size: 288
    .language:       OpenCL C
    .language_version:
      - 2
      - 0
    .max_flat_workgroup_size: 1024
    .name:           _Z27base_elementwise_add_kernelPK6__halfS1_PS_m
    .private_segment_fixed_size: 0
    .sgpr_count:     12
    .sgpr_spill_count: 0
    .symbol:         _Z27base_elementwise_add_kernelPK6__halfS1_PS_m.kd
    .uniform_work_group_size: 1
    .uses_dynamic_stack: false
    .vgpr_count:     8
    .vgpr_spill_count: 0
    .wavefront_size: 64
  - .args:
      - .actual_access:  read_only
        .address_space:  global
        .offset:         0
        .size:           8
        .value_kind:     global_buffer
      - .actual_access:  read_only
        .address_space:  global
        .offset:         8
        .size:           8
        .value_kind:     global_buffer
      - .actual_access:  write_only
        .address_space:  global
        .offset:         16
        .size:           8
        .value_kind:     global_buffer
      - .offset:         24
        .size:           8
        .value_kind:     by_value
      - .offset:         32
        .size:           4
        .value_kind:     hidden_block_count_x
      - .offset:         36
        .size:           4
        .value_kind:     hidden_block_count_y
      - .offset:         40
        .size:           4
        .value_kind:     hidden_block_count_z
      - .offset:         44
        .size:           2
        .value_kind:     hidden_group_size_x
      - .offset:         46
        .size:           2
        .value_kind:     hidden_group_size_y
      - .offset:         48
        .size:           2
        .value_kind:     hidden_group_size_z
      - .offset:         50
        .size:           2
        .value_kind:     hidden_remainder_x
      - .offset:         52
        .size:           2
        .value_kind:     hidden_remainder_y
      - .offset:         54
        .size:           2
        .value_kind:     hidden_remainder_z
      - .offset:         72
        .size:           8
        .value_kind:     hidden_global_offset_x
      - .offset:         80
        .size:           8
        .value_kind:     hidden_global_offset_y
      - .offset:         88
        .size:           8
        .value_kind:     hidden_global_offset_z
      - .offset:         96
        .size:           2
        .value_kind:     hidden_grid_dims
    .group_segment_fixed_size: 0
    .kernarg_segment_align: 8
    .kernarg_segment_size: 288
    .language:       OpenCL C
    .language_version:
      - 2
      - 0
    .max_flat_workgroup_size: 1024
    .name:           _Z33vectorized_elementwise_add_kernelPK6__halfS1_PS_m
    .private_segment_fixed_size: 0
    .sgpr_count:     20
    .sgpr_spill_count: 0
    .symbol:         _Z33vectorized_elementwise_add_kernelPK6__halfS1_PS_m.kd
    .uniform_work_group_size: 1
    .uses_dynamic_stack: false
    .vgpr_count:     14
    .vgpr_spill_count: 0
    .wavefront_size: 64
  - .args:
      - .actual_access:  read_only
        .address_space:  global
        .offset:         0
        .size:           8
        .value_kind:     global_buffer
      - .actual_access:  read_only
        .address_space:  global
        .offset:         8
        .size:           8
        .value_kind:     global_buffer
      - .actual_access:  write_only
        .address_space:  global
        .offset:         16
        .size:           8
        .value_kind:     global_buffer
      - .offset:         24
        .size:           4
        .value_kind:     by_value
      - .offset:         28
        .size:           4
        .value_kind:     by_value
    .group_segment_fixed_size: 0
    .kernarg_segment_align: 8
    .kernarg_segment_size: 32
    .language:       OpenCL C
    .language_version:
      - 2
      - 0
    .max_flat_workgroup_size: 1024
    .name:           _Z25tv_elementwise_add_kernelILi512EEvPK6__halfS2_PS0_ii
    .private_segment_fixed_size: 0
    .sgpr_count:     15
    .sgpr_spill_count: 0
    .symbol:         _Z25tv_elementwise_add_kernelILi512EEvPK6__halfS2_PS0_ii.kd
    .uniform_work_group_size: 1
    .uses_dynamic_stack: false
    .vgpr_count:     16
    .vgpr_spill_count: 0
    .wavefront_size: 64
  - .args:
      - .actual_access:  read_only
        .address_space:  global
        .offset:         0
        .size:           8
        .value_kind:     global_buffer
      - .actual_access:  read_only
        .address_space:  global
        .offset:         8
        .size:           8
        .value_kind:     global_buffer
      - .actual_access:  write_only
        .address_space:  global
        .offset:         16
        .size:           8
        .value_kind:     global_buffer
      - .offset:         24
        .size:           4
        .value_kind:     by_value
      - .offset:         28
        .size:           4
        .value_kind:     by_value
    .group_segment_fixed_size: 0
    .kernarg_segment_align: 8
    .kernarg_segment_size: 32
    .language:       OpenCL C
    .language_version:
      - 2
      - 0
    .max_flat_workgroup_size: 1024
    .name:           _Z25tv_elementwise_add_kernelILi256EEvPK6__halfS2_PS0_ii
    .private_segment_fixed_size: 0
    .sgpr_count:     15
    .sgpr_spill_count: 0
    .symbol:         _Z25tv_elementwise_add_kernelILi256EEvPK6__halfS2_PS0_ii.kd
    .uniform_work_group_size: 1
    .uses_dynamic_stack: false
    .vgpr_count:     16
    .vgpr_spill_count: 0
    .wavefront_size: 64
amdhsa.target:   amdgcn-amd-amdhsa--gfx906
amdhsa.version:
  - 1
  - 2
...

	.end_amdgpu_metadata
